;; amdgpu-corpus repo=ROCm/rocFFT kind=compiled arch=gfx1201 opt=O3
	.text
	.amdgcn_target "amdgcn-amd-amdhsa--gfx1201"
	.amdhsa_code_object_version 6
	.protected	fft_rtc_fwd_len1372_factors_2_2_7_7_7_wgs_196_tpt_98_halfLds_half_op_CI_CI_sbrr_dirReg ; -- Begin function fft_rtc_fwd_len1372_factors_2_2_7_7_7_wgs_196_tpt_98_halfLds_half_op_CI_CI_sbrr_dirReg
	.globl	fft_rtc_fwd_len1372_factors_2_2_7_7_7_wgs_196_tpt_98_halfLds_half_op_CI_CI_sbrr_dirReg
	.p2align	8
	.type	fft_rtc_fwd_len1372_factors_2_2_7_7_7_wgs_196_tpt_98_halfLds_half_op_CI_CI_sbrr_dirReg,@function
fft_rtc_fwd_len1372_factors_2_2_7_7_7_wgs_196_tpt_98_halfLds_half_op_CI_CI_sbrr_dirReg: ; @fft_rtc_fwd_len1372_factors_2_2_7_7_7_wgs_196_tpt_98_halfLds_half_op_CI_CI_sbrr_dirReg
; %bb.0:
	s_clause 0x2
	s_load_b128 s[12:15], s[0:1], 0x18
	s_load_b128 s[8:11], s[0:1], 0x0
	;; [unrolled: 1-line block ×3, first 2 shown]
	v_mul_u32_u24_e32 v1, 0x29d, v0
	v_mov_b32_e32 v7, 0
	v_mov_b32_e32 v5, 0
	;; [unrolled: 1-line block ×3, first 2 shown]
	s_wait_kmcnt 0x0
	s_load_b64 s[18:19], s[12:13], 0x0
	s_load_b64 s[16:17], s[14:15], 0x0
	v_lshrrev_b32_e32 v11, 16, v1
	v_cmp_lt_u64_e64 s2, s[10:11], 2
	v_mov_b32_e32 v10, v7
	s_delay_alu instid0(VALU_DEP_3) | instskip(NEXT) | instid1(VALU_DEP_3)
	v_lshl_add_u32 v9, ttmp9, 1, v11
	s_and_b32 vcc_lo, exec_lo, s2
	s_cbranch_vccnz .LBB0_8
; %bb.1:
	s_load_b64 s[2:3], s[0:1], 0x10
	v_mov_b32_e32 v5, 0
	v_mov_b32_e32 v6, 0
	s_delay_alu instid0(VALU_DEP_2)
	v_mov_b32_e32 v1, v5
	s_add_nc_u64 s[20:21], s[14:15], 8
	s_add_nc_u64 s[22:23], s[12:13], 8
	s_mov_b64 s[24:25], 1
	v_mov_b32_e32 v2, v6
	s_wait_kmcnt 0x0
	s_add_nc_u64 s[26:27], s[2:3], 8
	s_mov_b32 s3, 0
.LBB0_2:                                ; =>This Inner Loop Header: Depth=1
	s_load_b64 s[28:29], s[26:27], 0x0
                                        ; implicit-def: $vgpr3_vgpr4
	s_mov_b32 s2, exec_lo
	s_wait_kmcnt 0x0
	v_or_b32_e32 v8, s29, v10
	s_delay_alu instid0(VALU_DEP_1)
	v_cmpx_ne_u64_e32 0, v[7:8]
	s_wait_alu 0xfffe
	s_xor_b32 s30, exec_lo, s2
	s_cbranch_execz .LBB0_4
; %bb.3:                                ;   in Loop: Header=BB0_2 Depth=1
	s_cvt_f32_u32 s2, s28
	s_cvt_f32_u32 s31, s29
	s_sub_nc_u64 s[36:37], 0, s[28:29]
	s_wait_alu 0xfffe
	s_delay_alu instid0(SALU_CYCLE_1) | instskip(SKIP_1) | instid1(SALU_CYCLE_2)
	s_fmamk_f32 s2, s31, 0x4f800000, s2
	s_wait_alu 0xfffe
	v_s_rcp_f32 s2, s2
	s_delay_alu instid0(TRANS32_DEP_1) | instskip(SKIP_1) | instid1(SALU_CYCLE_2)
	s_mul_f32 s2, s2, 0x5f7ffffc
	s_wait_alu 0xfffe
	s_mul_f32 s31, s2, 0x2f800000
	s_wait_alu 0xfffe
	s_delay_alu instid0(SALU_CYCLE_2) | instskip(SKIP_1) | instid1(SALU_CYCLE_2)
	s_trunc_f32 s31, s31
	s_wait_alu 0xfffe
	s_fmamk_f32 s2, s31, 0xcf800000, s2
	s_cvt_u32_f32 s35, s31
	s_wait_alu 0xfffe
	s_delay_alu instid0(SALU_CYCLE_1) | instskip(SKIP_1) | instid1(SALU_CYCLE_2)
	s_cvt_u32_f32 s34, s2
	s_wait_alu 0xfffe
	s_mul_u64 s[38:39], s[36:37], s[34:35]
	s_wait_alu 0xfffe
	s_mul_hi_u32 s41, s34, s39
	s_mul_i32 s40, s34, s39
	s_mul_hi_u32 s2, s34, s38
	s_mul_i32 s33, s35, s38
	s_wait_alu 0xfffe
	s_add_nc_u64 s[40:41], s[2:3], s[40:41]
	s_mul_hi_u32 s31, s35, s38
	s_mul_hi_u32 s42, s35, s39
	s_add_co_u32 s2, s40, s33
	s_wait_alu 0xfffe
	s_add_co_ci_u32 s2, s41, s31
	s_mul_i32 s38, s35, s39
	s_add_co_ci_u32 s39, s42, 0
	s_wait_alu 0xfffe
	s_add_nc_u64 s[38:39], s[2:3], s[38:39]
	s_wait_alu 0xfffe
	v_add_co_u32 v3, s2, s34, s38
	s_delay_alu instid0(VALU_DEP_1) | instskip(SKIP_1) | instid1(VALU_DEP_1)
	s_cmp_lg_u32 s2, 0
	s_add_co_ci_u32 s35, s35, s39
	v_readfirstlane_b32 s34, v3
	s_wait_alu 0xfffe
	s_delay_alu instid0(VALU_DEP_1)
	s_mul_u64 s[36:37], s[36:37], s[34:35]
	s_wait_alu 0xfffe
	s_mul_hi_u32 s39, s34, s37
	s_mul_i32 s38, s34, s37
	s_mul_hi_u32 s2, s34, s36
	s_mul_i32 s33, s35, s36
	s_wait_alu 0xfffe
	s_add_nc_u64 s[38:39], s[2:3], s[38:39]
	s_mul_hi_u32 s31, s35, s36
	s_mul_hi_u32 s34, s35, s37
	s_wait_alu 0xfffe
	s_add_co_u32 s2, s38, s33
	s_add_co_ci_u32 s2, s39, s31
	s_mul_i32 s36, s35, s37
	s_add_co_ci_u32 s37, s34, 0
	s_wait_alu 0xfffe
	s_add_nc_u64 s[36:37], s[2:3], s[36:37]
	s_wait_alu 0xfffe
	v_add_co_u32 v8, s2, v3, s36
	s_delay_alu instid0(VALU_DEP_1) | instskip(SKIP_1) | instid1(VALU_DEP_1)
	s_cmp_lg_u32 s2, 0
	s_add_co_ci_u32 s2, s35, s37
	v_mul_hi_u32 v16, v9, v8
	s_wait_alu 0xfffe
	v_mad_co_u64_u32 v[3:4], null, v9, s2, 0
	v_mad_co_u64_u32 v[12:13], null, v10, v8, 0
	;; [unrolled: 1-line block ×3, first 2 shown]
	s_delay_alu instid0(VALU_DEP_3) | instskip(SKIP_1) | instid1(VALU_DEP_4)
	v_add_co_u32 v3, vcc_lo, v16, v3
	s_wait_alu 0xfffd
	v_add_co_ci_u32_e32 v4, vcc_lo, 0, v4, vcc_lo
	s_delay_alu instid0(VALU_DEP_2) | instskip(SKIP_1) | instid1(VALU_DEP_2)
	v_add_co_u32 v3, vcc_lo, v3, v12
	s_wait_alu 0xfffd
	v_add_co_ci_u32_e32 v3, vcc_lo, v4, v13, vcc_lo
	s_wait_alu 0xfffd
	v_add_co_ci_u32_e32 v4, vcc_lo, 0, v15, vcc_lo
	s_delay_alu instid0(VALU_DEP_2) | instskip(SKIP_1) | instid1(VALU_DEP_2)
	v_add_co_u32 v8, vcc_lo, v3, v14
	s_wait_alu 0xfffd
	v_add_co_ci_u32_e32 v12, vcc_lo, 0, v4, vcc_lo
	s_delay_alu instid0(VALU_DEP_2) | instskip(SKIP_1) | instid1(VALU_DEP_3)
	v_mul_lo_u32 v13, s29, v8
	v_mad_co_u64_u32 v[3:4], null, s28, v8, 0
	v_mul_lo_u32 v14, s28, v12
	s_delay_alu instid0(VALU_DEP_2) | instskip(NEXT) | instid1(VALU_DEP_2)
	v_sub_co_u32 v3, vcc_lo, v9, v3
	v_add3_u32 v4, v4, v14, v13
	s_delay_alu instid0(VALU_DEP_1) | instskip(SKIP_1) | instid1(VALU_DEP_1)
	v_sub_nc_u32_e32 v13, v10, v4
	s_wait_alu 0xfffd
	v_subrev_co_ci_u32_e64 v13, s2, s29, v13, vcc_lo
	v_add_co_u32 v14, s2, v8, 2
	s_wait_alu 0xf1ff
	v_add_co_ci_u32_e64 v15, s2, 0, v12, s2
	v_sub_co_u32 v16, s2, v3, s28
	v_sub_co_ci_u32_e32 v4, vcc_lo, v10, v4, vcc_lo
	s_wait_alu 0xf1ff
	v_subrev_co_ci_u32_e64 v13, s2, 0, v13, s2
	s_delay_alu instid0(VALU_DEP_3) | instskip(NEXT) | instid1(VALU_DEP_3)
	v_cmp_le_u32_e32 vcc_lo, s28, v16
	v_cmp_eq_u32_e64 s2, s29, v4
	s_wait_alu 0xfffd
	v_cndmask_b32_e64 v16, 0, -1, vcc_lo
	v_cmp_le_u32_e32 vcc_lo, s29, v13
	s_wait_alu 0xfffd
	v_cndmask_b32_e64 v17, 0, -1, vcc_lo
	v_cmp_le_u32_e32 vcc_lo, s28, v3
	;; [unrolled: 3-line block ×3, first 2 shown]
	s_wait_alu 0xfffd
	v_cndmask_b32_e64 v18, 0, -1, vcc_lo
	v_cmp_eq_u32_e32 vcc_lo, s29, v13
	s_wait_alu 0xf1ff
	s_delay_alu instid0(VALU_DEP_2)
	v_cndmask_b32_e64 v3, v18, v3, s2
	s_wait_alu 0xfffd
	v_cndmask_b32_e32 v13, v17, v16, vcc_lo
	v_add_co_u32 v16, vcc_lo, v8, 1
	s_wait_alu 0xfffd
	v_add_co_ci_u32_e32 v17, vcc_lo, 0, v12, vcc_lo
	s_delay_alu instid0(VALU_DEP_3) | instskip(SKIP_1) | instid1(VALU_DEP_2)
	v_cmp_ne_u32_e32 vcc_lo, 0, v13
	s_wait_alu 0xfffd
	v_dual_cndmask_b32 v4, v17, v15 :: v_dual_cndmask_b32 v13, v16, v14
	v_cmp_ne_u32_e32 vcc_lo, 0, v3
	s_wait_alu 0xfffd
	s_delay_alu instid0(VALU_DEP_2) | instskip(NEXT) | instid1(VALU_DEP_3)
	v_cndmask_b32_e32 v4, v12, v4, vcc_lo
	v_cndmask_b32_e32 v3, v8, v13, vcc_lo
.LBB0_4:                                ;   in Loop: Header=BB0_2 Depth=1
	s_wait_alu 0xfffe
	s_and_not1_saveexec_b32 s2, s30
	s_cbranch_execz .LBB0_6
; %bb.5:                                ;   in Loop: Header=BB0_2 Depth=1
	v_cvt_f32_u32_e32 v3, s28
	s_sub_co_i32 s30, 0, s28
	s_delay_alu instid0(VALU_DEP_1) | instskip(NEXT) | instid1(TRANS32_DEP_1)
	v_rcp_iflag_f32_e32 v3, v3
	v_mul_f32_e32 v3, 0x4f7ffffe, v3
	s_delay_alu instid0(VALU_DEP_1) | instskip(SKIP_1) | instid1(VALU_DEP_1)
	v_cvt_u32_f32_e32 v3, v3
	s_wait_alu 0xfffe
	v_mul_lo_u32 v4, s30, v3
	s_delay_alu instid0(VALU_DEP_1) | instskip(NEXT) | instid1(VALU_DEP_1)
	v_mul_hi_u32 v4, v3, v4
	v_add_nc_u32_e32 v3, v3, v4
	s_delay_alu instid0(VALU_DEP_1) | instskip(NEXT) | instid1(VALU_DEP_1)
	v_mul_hi_u32 v3, v9, v3
	v_mul_lo_u32 v4, v3, s28
	v_add_nc_u32_e32 v8, 1, v3
	s_delay_alu instid0(VALU_DEP_2) | instskip(NEXT) | instid1(VALU_DEP_1)
	v_sub_nc_u32_e32 v4, v9, v4
	v_subrev_nc_u32_e32 v12, s28, v4
	v_cmp_le_u32_e32 vcc_lo, s28, v4
	s_wait_alu 0xfffd
	s_delay_alu instid0(VALU_DEP_2) | instskip(SKIP_1) | instid1(VALU_DEP_2)
	v_cndmask_b32_e32 v4, v4, v12, vcc_lo
	v_cndmask_b32_e32 v3, v3, v8, vcc_lo
	v_cmp_le_u32_e32 vcc_lo, s28, v4
	s_delay_alu instid0(VALU_DEP_2) | instskip(SKIP_2) | instid1(VALU_DEP_2)
	v_add_nc_u32_e32 v8, 1, v3
	v_mov_b32_e32 v4, v7
	s_wait_alu 0xfffd
	v_cndmask_b32_e32 v3, v3, v8, vcc_lo
.LBB0_6:                                ;   in Loop: Header=BB0_2 Depth=1
	s_wait_alu 0xfffe
	s_or_b32 exec_lo, exec_lo, s2
	v_mul_lo_u32 v8, v4, s28
	s_delay_alu instid0(VALU_DEP_2)
	v_mul_lo_u32 v14, v3, s29
	s_load_b64 s[30:31], s[22:23], 0x0
	v_mad_co_u64_u32 v[12:13], null, v3, s28, 0
	s_load_b64 s[28:29], s[20:21], 0x0
	s_add_nc_u64 s[24:25], s[24:25], 1
	s_add_nc_u64 s[20:21], s[20:21], 8
	s_wait_alu 0xfffe
	v_cmp_ge_u64_e64 s2, s[24:25], s[10:11]
	s_add_nc_u64 s[22:23], s[22:23], 8
	s_add_nc_u64 s[26:27], s[26:27], 8
	v_add3_u32 v8, v13, v14, v8
	v_sub_co_u32 v9, vcc_lo, v9, v12
	s_wait_alu 0xfffd
	s_delay_alu instid0(VALU_DEP_2) | instskip(SKIP_2) | instid1(VALU_DEP_1)
	v_sub_co_ci_u32_e32 v8, vcc_lo, v10, v8, vcc_lo
	s_and_b32 vcc_lo, exec_lo, s2
	s_wait_kmcnt 0x0
	v_mul_lo_u32 v10, s30, v8
	v_mul_lo_u32 v12, s31, v9
	v_mad_co_u64_u32 v[5:6], null, s30, v9, v[5:6]
	v_mul_lo_u32 v8, s28, v8
	v_mul_lo_u32 v13, s29, v9
	v_mad_co_u64_u32 v[1:2], null, s28, v9, v[1:2]
	s_delay_alu instid0(VALU_DEP_4) | instskip(NEXT) | instid1(VALU_DEP_2)
	v_add3_u32 v6, v12, v6, v10
	v_add3_u32 v2, v13, v2, v8
	s_wait_alu 0xfffe
	s_cbranch_vccnz .LBB0_9
; %bb.7:                                ;   in Loop: Header=BB0_2 Depth=1
	v_dual_mov_b32 v10, v4 :: v_dual_mov_b32 v9, v3
	s_branch .LBB0_2
.LBB0_8:
	v_dual_mov_b32 v1, v5 :: v_dual_mov_b32 v2, v6
	s_delay_alu instid0(VALU_DEP_2)
	v_dual_mov_b32 v3, v9 :: v_dual_mov_b32 v4, v10
.LBB0_9:
	s_load_b64 s[0:1], s[0:1], 0x28
	v_mul_hi_u32 v35, 0x29cbc15, v0
	s_lshl_b64 s[10:11], s[10:11], 3
                                        ; implicit-def: $sgpr2
                                        ; implicit-def: $vgpr7
                                        ; implicit-def: $vgpr8
                                        ; implicit-def: $vgpr9
                                        ; implicit-def: $vgpr10
                                        ; implicit-def: $vgpr12
                                        ; implicit-def: $vgpr13
                                        ; implicit-def: $vgpr16
	s_wait_kmcnt 0x0
	v_cmp_gt_u64_e32 vcc_lo, s[0:1], v[3:4]
	v_cmp_le_u64_e64 s0, s[0:1], v[3:4]
	s_delay_alu instid0(VALU_DEP_1)
	s_and_saveexec_b32 s1, s0
	s_wait_alu 0xfffe
	s_xor_b32 s0, exec_lo, s1
; %bb.10:
	v_mul_u32_u24_e32 v5, 0x62, v35
	s_mov_b32 s2, 0
                                        ; implicit-def: $vgpr35
	s_delay_alu instid0(VALU_DEP_1) | instskip(NEXT) | instid1(VALU_DEP_1)
	v_sub_nc_u32_e32 v7, v0, v5
                                        ; implicit-def: $vgpr0
                                        ; implicit-def: $vgpr5_vgpr6
	v_add_nc_u32_e32 v8, 0x62, v7
	v_add_nc_u32_e32 v9, 0xc4, v7
	v_add_nc_u32_e32 v10, 0x126, v7
	v_add_nc_u32_e32 v12, 0x188, v7
	v_add_nc_u32_e32 v13, 0x1ea, v7
	v_add_nc_u32_e32 v16, 0x24c, v7
; %bb.11:
	s_wait_alu 0xfffe
	s_or_saveexec_b32 s1, s0
	v_dual_mov_b32 v15, s2 :: v_dual_mov_b32 v26, s2
	v_dual_mov_b32 v17, s2 :: v_dual_mov_b32 v22, s2
	v_mov_b32_e32 v29, s2
	v_mov_b32_e32 v25, s2
	;; [unrolled: 1-line block ×3, first 2 shown]
	s_add_nc_u64 s[2:3], s[14:15], s[10:11]
                                        ; implicit-def: $vgpr36
                                        ; implicit-def: $vgpr14
                                        ; implicit-def: $vgpr34
                                        ; implicit-def: $vgpr18
                                        ; implicit-def: $vgpr33
                                        ; implicit-def: $vgpr19
                                        ; implicit-def: $vgpr32
                                        ; implicit-def: $vgpr20
                                        ; implicit-def: $vgpr31
                                        ; implicit-def: $vgpr23
                                        ; implicit-def: $vgpr28
                                        ; implicit-def: $vgpr27
                                        ; implicit-def: $vgpr30
                                        ; implicit-def: $vgpr24
	s_wait_alu 0xfffe
	s_xor_b32 exec_lo, exec_lo, s1
	s_cbranch_execz .LBB0_13
; %bb.12:
	v_mul_u32_u24_e32 v7, 0x62, v35
	s_add_nc_u64 s[10:11], s[12:13], s[10:11]
	v_lshlrev_b64_e32 v[5:6], 2, v[5:6]
	s_load_b64 s[10:11], s[10:11], 0x0
	s_delay_alu instid0(VALU_DEP_2) | instskip(NEXT) | instid1(VALU_DEP_1)
	v_sub_nc_u32_e32 v7, v0, v7
	v_mad_co_u64_u32 v[12:13], null, s18, v7, 0
	v_add_nc_u32_e32 v25, 0x2ae, v7
	v_add_nc_u32_e32 v31, 0x3d4, v7
	;; [unrolled: 1-line block ×3, first 2 shown]
	s_delay_alu instid0(VALU_DEP_4) | instskip(NEXT) | instid1(VALU_DEP_4)
	v_mov_b32_e32 v0, v13
	v_mad_co_u64_u32 v[14:15], null, s18, v25, 0
	v_add_nc_u32_e32 v27, 0x310, v7
	s_delay_alu instid0(VALU_DEP_4) | instskip(NEXT) | instid1(VALU_DEP_4)
	v_mad_co_u64_u32 v[32:33], null, s18, v36, 0
	v_mad_co_u64_u32 v[22:23], null, s19, v7, v[0:1]
	s_wait_kmcnt 0x0
	v_mul_lo_u32 v13, s11, v3
	v_mov_b32_e32 v0, v15
	v_mad_co_u64_u32 v[20:21], null, s18, v27, 0
	v_add_nc_u32_e32 v8, 0x62, v7
	v_mul_lo_u32 v26, s10, v4
	v_mad_co_u64_u32 v[18:19], null, s10, v3, 0
	s_delay_alu instid0(VALU_DEP_4) | instskip(NEXT) | instid1(VALU_DEP_4)
	v_mov_b32_e32 v15, v21
	v_mad_co_u64_u32 v[16:17], null, s18, v8, 0
	v_add_nc_u32_e32 v9, 0xc4, v7
	s_delay_alu instid0(VALU_DEP_4) | instskip(SKIP_1) | instid1(VALU_DEP_4)
	v_add3_u32 v19, v19, v26, v13
	v_mad_co_u64_u32 v[25:26], null, s19, v25, v[0:1]
	v_mov_b32_e32 v10, v17
	s_delay_alu instid0(VALU_DEP_3) | instskip(SKIP_2) | instid1(VALU_DEP_4)
	v_lshlrev_b64_e32 v[17:18], 2, v[18:19]
	v_mad_co_u64_u32 v[23:24], null, s18, v9, 0
	v_mov_b32_e32 v13, v22
	v_mad_co_u64_u32 v[21:22], null, s19, v8, v[10:11]
	s_delay_alu instid0(VALU_DEP_4) | instskip(SKIP_3) | instid1(VALU_DEP_3)
	v_add_co_u32 v0, s0, s4, v17
	s_wait_alu 0xf1ff
	v_add_co_ci_u32_e64 v10, s0, s5, v18, s0
	v_mad_co_u64_u32 v[26:27], null, s19, v27, v[15:16]
	v_add_co_u32 v40, s0, v0, v5
	v_mov_b32_e32 v0, v24
	v_lshlrev_b64_e32 v[12:13], 2, v[12:13]
	v_mov_b32_e32 v17, v21
	v_mad_co_u64_u32 v[27:28], null, s18, v31, 0
	s_delay_alu instid0(VALU_DEP_4)
	v_mad_co_u64_u32 v[18:19], null, s19, v9, v[0:1]
	v_mov_b32_e32 v15, v25
	v_mov_b32_e32 v21, v26
	v_add_nc_u32_e32 v29, 0x372, v7
	s_wait_alu 0xf1ff
	v_add_co_ci_u32_e64 v41, s0, v10, v6, s0
	v_add_nc_u32_e32 v10, 0x126, v7
	v_mov_b32_e32 v24, v18
	v_lshlrev_b64_e32 v[5:6], 2, v[14:15]
	v_lshlrev_b64_e32 v[14:15], 2, v[16:17]
	;; [unrolled: 1-line block ×3, first 2 shown]
	v_mad_co_u64_u32 v[19:20], null, s18, v29, 0
	v_add_co_u32 v12, s0, v40, v12
	s_wait_alu 0xf1ff
	v_add_co_ci_u32_e64 v13, s0, v41, v13, s0
	v_add_co_u32 v5, s0, v40, v5
	s_wait_alu 0xf1ff
	v_add_co_ci_u32_e64 v6, s0, v41, v6, s0
	v_add_co_u32 v21, s0, v40, v14
	v_mov_b32_e32 v0, v20
	s_wait_alu 0xf1ff
	v_add_co_ci_u32_e64 v22, s0, v41, v15, s0
	v_add_co_u32 v25, s0, v40, v16
	s_wait_alu 0xf1ff
	v_add_co_ci_u32_e64 v26, s0, v41, v17, s0
	v_mad_co_u64_u32 v[16:17], null, s19, v29, v[0:1]
	v_mov_b32_e32 v0, v28
	s_clause 0x3
	global_load_b32 v15, v[12:13], off
	global_load_b32 v14, v[5:6], off
	;; [unrolled: 1-line block ×4, first 2 shown]
	v_mad_co_u64_u32 v[29:30], null, s18, v10, 0
	v_add_nc_u32_e32 v12, 0x188, v7
	v_lshlrev_b64_e32 v[5:6], 2, v[23:24]
	v_mov_b32_e32 v20, v16
	v_mad_co_u64_u32 v[21:22], null, s19, v31, v[0:1]
	v_mov_b32_e32 v13, v30
	s_delay_alu instid0(VALU_DEP_3) | instskip(SKIP_4) | instid1(VALU_DEP_4)
	v_lshlrev_b64_e32 v[19:20], 2, v[19:20]
	v_add_co_u32 v5, s0, v40, v5
	s_wait_alu 0xf1ff
	v_add_co_ci_u32_e64 v6, s0, v41, v6, s0
	v_mov_b32_e32 v28, v21
	v_add_co_u32 v19, s0, v40, v19
	s_wait_alu 0xf1ff
	v_add_co_ci_u32_e64 v20, s0, v41, v20, s0
	global_load_b32 v19, v[19:20], off
	s_wait_loadcnt 0x3
	v_mad_co_u64_u32 v[22:23], null, s19, v10, v[13:14]
	v_add_nc_u32_e32 v13, 0x1ea, v7
	v_mad_co_u64_u32 v[23:24], null, s18, v12, 0
	s_delay_alu instid0(VALU_DEP_3) | instskip(SKIP_1) | instid1(VALU_DEP_3)
	v_mov_b32_e32 v30, v22
	v_lshlrev_b64_e32 v[21:22], 2, v[27:28]
	v_mov_b32_e32 v0, v24
	s_delay_alu instid0(VALU_DEP_2) | instskip(NEXT) | instid1(VALU_DEP_2)
	v_add_co_u32 v20, s0, v40, v21
	v_mad_co_u64_u32 v[27:28], null, s19, v12, v[0:1]
	v_lshlrev_b64_e32 v[28:29], 2, v[29:30]
	v_mad_co_u64_u32 v[30:31], null, s18, v13, 0
	v_add_nc_u32_e32 v16, 0x436, v7
	s_wait_alu 0xf1ff
	v_add_co_ci_u32_e64 v21, s0, v41, v22, s0
	v_mov_b32_e32 v24, v27
	v_add_co_u32 v34, s0, v40, v28
	global_load_b32 v20, v[20:21], off
	s_wait_alu 0xf1ff
	v_add_co_ci_u32_e64 v35, s0, v41, v29, s0
	v_lshlrev_b64_e32 v[21:22], 2, v[23:24]
	v_mov_b32_e32 v23, v31
	v_mad_co_u64_u32 v[25:26], null, s18, v16, 0
	v_add_nc_u32_e32 v31, 0x4fa, v7
	s_delay_alu instid0(VALU_DEP_4) | instskip(SKIP_2) | instid1(VALU_DEP_4)
	v_add_co_u32 v21, s0, v40, v21
	s_wait_alu 0xf1ff
	v_add_co_ci_u32_e64 v22, s0, v41, v22, s0
	v_mov_b32_e32 v0, v26
	s_delay_alu instid0(VALU_DEP_1) | instskip(SKIP_2) | instid1(VALU_DEP_2)
	v_mad_co_u64_u32 v[26:27], null, s19, v16, v[0:1]
	v_mov_b32_e32 v0, v33
	v_add_nc_u32_e32 v16, 0x24c, v7
	v_mad_co_u64_u32 v[27:28], null, s19, v36, v[0:1]
	v_mad_co_u64_u32 v[28:29], null, s18, v31, 0
	v_lshlrev_b64_e32 v[24:25], 2, v[25:26]
	s_delay_alu instid0(VALU_DEP_4) | instskip(NEXT) | instid1(VALU_DEP_3)
	v_mad_co_u64_u32 v[36:37], null, s18, v16, 0
	v_dual_mov_b32 v33, v27 :: v_dual_mov_b32 v0, v29
	s_delay_alu instid0(VALU_DEP_3) | instskip(NEXT) | instid1(VALU_DEP_3)
	v_mad_co_u64_u32 v[38:39], null, s19, v13, v[23:24]
	v_mov_b32_e32 v23, v37
	s_delay_alu instid0(VALU_DEP_3) | instskip(NEXT) | instid1(VALU_DEP_4)
	v_lshlrev_b64_e32 v[32:33], 2, v[32:33]
	v_mad_co_u64_u32 v[26:27], null, s19, v31, v[0:1]
	v_add_co_u32 v24, s0, v40, v24
	s_wait_alu 0xf1ff
	v_add_co_ci_u32_e64 v25, s0, v41, v25, s0
	v_mov_b32_e32 v31, v38
	s_delay_alu instid0(VALU_DEP_3)
	v_mad_co_u64_u32 v[37:38], null, s19, v16, v[23:24]
	v_mov_b32_e32 v29, v26
	v_add_co_u32 v26, s0, v40, v32
	s_wait_alu 0xf1ff
	v_add_co_ci_u32_e64 v27, s0, v41, v33, s0
	global_load_b32 v23, v[24:25], off
	v_lshlrev_b64_e32 v[28:29], 2, v[28:29]
	global_load_b32 v27, v[26:27], off
	v_lshlrev_b64_e32 v[24:25], 2, v[30:31]
	s_delay_alu instid0(VALU_DEP_1) | instskip(SKIP_1) | instid1(VALU_DEP_2)
	v_add_co_u32 v30, s0, v40, v24
	s_wait_alu 0xf1ff
	v_add_co_ci_u32_e64 v31, s0, v41, v25, s0
	v_lshlrev_b64_e32 v[24:25], 2, v[36:37]
	v_add_co_u32 v28, s0, v40, v28
	s_wait_alu 0xf1ff
	v_add_co_ci_u32_e64 v29, s0, v41, v29, s0
	v_lshrrev_b32_e32 v36, 16, v14
	s_delay_alu instid0(VALU_DEP_4)
	v_add_co_u32 v32, s0, v40, v24
	s_wait_alu 0xf1ff
	v_add_co_ci_u32_e64 v33, s0, v41, v25, s0
	s_clause 0x5
	global_load_b32 v24, v[28:29], off
	global_load_b32 v29, v[5:6], off
	global_load_b32 v26, v[34:35], off
	global_load_b32 v25, v[21:22], off
	global_load_b32 v22, v[30:31], off
	global_load_b32 v21, v[32:33], off
	s_wait_loadcnt 0xa
	v_lshrrev_b32_e32 v34, 16, v18
	s_wait_loadcnt 0x9
	v_lshrrev_b32_e32 v33, 16, v19
	s_wait_loadcnt 0x8
	v_lshrrev_b32_e32 v32, 16, v20
	s_wait_loadcnt 0x7
	v_lshrrev_b32_e32 v31, 16, v23
	s_wait_loadcnt 0x6
	v_lshrrev_b32_e32 v28, 16, v27
	s_wait_loadcnt 0x5
	v_lshrrev_b32_e32 v30, 16, v24
.LBB0_13:
	s_or_b32 exec_lo, exec_lo, s1
	v_lshrrev_b32_e32 v0, 16, v15
	v_and_b32_e32 v5, 1, v11
	v_sub_f16_e32 v6, v15, v14
	v_lshrrev_b32_e32 v11, 16, v17
	s_wait_loadcnt 0x3
	v_sub_f16_e32 v20, v26, v20
	v_sub_f16_e32 v35, v0, v36
	v_cmp_eq_u32_e64 s0, 1, v5
	v_fma_f16 v5, v15, 2.0, -v6
	v_sub_f16_e32 v34, v11, v34
	s_wait_loadcnt 0x2
	v_lshrrev_b32_e32 v15, 16, v25
	v_fma_f16 v36, v0, 2.0, -v35
	v_lshrrev_b32_e32 v0, 16, v29
	s_wait_alu 0xf1ff
	v_cndmask_b32_e64 v14, 0, 0xab8, s0
	v_fma_f16 v37, v11, 2.0, -v34
	v_lshrrev_b32_e32 v11, 16, v26
	v_sub_f16_e32 v18, v17, v18
	v_sub_f16_e32 v33, v0, v33
	;; [unrolled: 1-line block ×5, first 2 shown]
	v_fma_f16 v17, v17, 2.0, -v18
	v_fma_f16 v38, v0, 2.0, -v33
	;; [unrolled: 1-line block ×3, first 2 shown]
	v_sub_f16_e32 v26, v15, v31
	v_fma_f16 v29, v29, 2.0, -v19
	s_wait_loadcnt 0x1
	v_sub_f16_e32 v27, v22, v27
	s_wait_loadcnt 0x0
	v_sub_f16_e32 v24, v21, v24
	v_pack_b32_f16 v5, v5, v6
	v_fma_f16 v39, v15, 2.0, -v26
	v_add_nc_u32_e32 v15, 0, v14
	v_fma_f16 v31, v11, 2.0, -v32
	v_fma_f16 v11, v25, 2.0, -v23
	v_lshrrev_b32_e32 v25, 16, v22
	v_lshrrev_b32_e32 v40, 16, v21
	v_lshl_add_u32 v41, v7, 2, v15
	v_fma_f16 v22, v22, 2.0, -v27
	v_fma_f16 v6, v21, 2.0, -v24
	v_lshl_add_u32 v43, v8, 2, v15
	v_pack_b32_f16 v0, v0, v20
	ds_store_b32 v41, v5
	v_pack_b32_f16 v5, v17, v18
	v_lshl_add_u32 v17, v9, 2, v15
	v_pack_b32_f16 v18, v29, v19
	v_lshl_add_u32 v19, v10, 2, v15
	v_sub_f16_e32 v28, v25, v28
	v_sub_f16_e32 v30, v40, v30
	v_lshlrev_b32_e32 v42, 1, v8
	ds_store_b32 v43, v5
	v_lshlrev_b32_e32 v20, 1, v9
	ds_store_b32 v17, v18
	ds_store_b32 v19, v0
	v_lshl_add_u32 v18, v12, 2, v15
	v_pack_b32_f16 v0, v11, v23
	v_lshl_add_u32 v23, v13, 2, v15
	v_pack_b32_f16 v5, v22, v27
	;; [unrolled: 2-line block ×3, first 2 shown]
	v_lshlrev_b32_e32 v29, 1, v10
	v_lshlrev_b32_e32 v44, 1, v12
	;; [unrolled: 1-line block ×3, first 2 shown]
	v_fma_f16 v25, v25, 2.0, -v28
	v_fma_f16 v21, v40, 2.0, -v30
	v_lshlrev_b32_e32 v40, 1, v7
	v_lshlrev_b32_e32 v16, 1, v16
	v_sub_nc_u32_e32 v12, v43, v42
	v_pack_b32_f16 v35, v36, v35
	ds_store_b32 v18, v0
	ds_store_b32 v23, v5
	;; [unrolled: 1-line block ×3, first 2 shown]
	v_sub_nc_u32_e32 v6, v17, v20
	v_pack_b32_f16 v34, v37, v34
	v_sub_nc_u32_e32 v9, v19, v29
	v_pack_b32_f16 v33, v38, v33
	v_sub_nc_u32_e32 v10, v18, v44
	v_sub_nc_u32_e32 v11, v23, v24
	s_load_b64 s[2:3], s[2:3], 0x0
	global_wb scope:SCOPE_SE
	s_wait_dscnt 0x0
	s_wait_kmcnt 0x0
	s_barrier_signal -1
	s_barrier_wait -1
	global_inv scope:SCOPE_SE
	v_add_nc_u32_e32 v0, v15, v40
	v_sub_nc_u32_e32 v5, v41, v40
	v_sub_nc_u32_e32 v13, v22, v16
	ds_load_u16 v27, v12
	ds_load_u16 v45, v6
	;; [unrolled: 1-line block ×7, first 2 shown]
	ds_load_u16 v51, v5 offset:1372
	ds_load_u16 v52, v5 offset:1568
	;; [unrolled: 1-line block ×7, first 2 shown]
	global_wb scope:SCOPE_SE
	s_wait_dscnt 0x0
	s_barrier_signal -1
	s_barrier_wait -1
	global_inv scope:SCOPE_SE
	ds_store_b32 v41, v35
	ds_store_b32 v43, v34
	;; [unrolled: 1-line block ×3, first 2 shown]
	v_pack_b32_f16 v17, v31, v32
	v_pack_b32_f16 v25, v25, v28
	v_and_b32_e32 v28, 1, v7
	v_pack_b32_f16 v26, v39, v26
	v_pack_b32_f16 v21, v21, v30
	ds_store_b32 v19, v17
	ds_store_b32 v18, v26
	;; [unrolled: 1-line block ×4, first 2 shown]
	v_lshlrev_b32_e32 v17, 2, v28
	global_wb scope:SCOPE_SE
	s_wait_dscnt 0x0
	s_barrier_signal -1
	s_barrier_wait -1
	global_inv scope:SCOPE_SE
	global_load_b32 v17, v17, s[8:9]
	v_and_b32_e32 v18, 3, v7
	v_and_or_b32 v25, 0x7fc, v44, v28
	v_and_or_b32 v19, 0xfc, v40, v28
	;; [unrolled: 1-line block ×4, first 2 shown]
	v_mul_u32_u24_e32 v23, 6, v18
	v_and_or_b32 v22, 0x3fc, v29, v28
	v_and_or_b32 v24, 0x7fc, v24, v28
	;; [unrolled: 1-line block ×3, first 2 shown]
	v_and_b32_e32 v34, 3, v8
	v_lshlrev_b32_e32 v28, 2, v23
	v_lshl_add_u32 v23, v25, 1, v15
	ds_load_u16 v25, v0
	ds_load_u16 v29, v5 offset:1372
	ds_load_u16 v30, v5 offset:1568
	v_lshl_add_u32 v31, v16, 1, v15
	ds_load_u16 v16, v5 offset:1764
	ds_load_u16 v32, v5 offset:1960
	;; [unrolled: 1-line block ×5, first 2 shown]
	ds_load_u16 v37, v12
	ds_load_u16 v38, v6
	;; [unrolled: 1-line block ×6, first 2 shown]
	v_mul_u32_u24_e32 v26, 6, v34
	v_lshl_add_u32 v19, v19, 1, v15
	v_lshl_add_u32 v21, v21, 1, v15
	;; [unrolled: 1-line block ×5, first 2 shown]
	global_wb scope:SCOPE_SE
	s_wait_loadcnt_dscnt 0x0
	s_barrier_signal -1
	s_barrier_wait -1
	global_inv scope:SCOPE_SE
	v_lshrrev_b32_e32 v43, 16, v17
	s_delay_alu instid0(VALU_DEP_1)
	v_mul_f16_e32 v44, v29, v43
	v_mul_f16_e32 v58, v51, v43
	;; [unrolled: 1-line block ×14, first 2 shown]
	v_fma_f16 v44, v51, v17, -v44
	v_fmac_f16_e32 v58, v29, v17
	v_fma_f16 v29, v52, v17, -v59
	v_fmac_f16_e32 v60, v30, v17
	;; [unrolled: 2-line block ×7, first 2 shown]
	v_sub_f16_e32 v17, v50, v44
	v_sub_f16_e32 v36, v25, v58
	;; [unrolled: 1-line block ×14, first 2 shown]
	v_fma_f16 v50, v50, 2.0, -v17
	v_fma_f16 v25, v25, 2.0, -v36
	;; [unrolled: 1-line block ×14, first 2 shown]
	ds_store_b16 v19, v50
	ds_store_b16 v19, v17 offset:4
	ds_store_b16 v21, v27
	ds_store_b16 v21, v29 offset:4
	;; [unrolled: 2-line block ×7, first 2 shown]
	global_wb scope:SCOPE_SE
	s_wait_dscnt 0x0
	s_barrier_signal -1
	s_barrier_wait -1
	global_inv scope:SCOPE_SE
	ds_load_u16 v17, v0
	ds_load_u16 v35, v13
	;; [unrolled: 1-line block ×7, first 2 shown]
	ds_load_u16 v49, v5 offset:2548
	ds_load_u16 v50, v5 offset:2352
	ds_load_u16 v55, v5 offset:2156
	ds_load_u16 v56, v5 offset:1960
	ds_load_u16 v57, v5 offset:1764
	ds_load_u16 v58, v5 offset:1568
	ds_load_u16 v59, v5 offset:1372
	global_wb scope:SCOPE_SE
	s_wait_dscnt 0x0
	s_barrier_signal -1
	s_barrier_wait -1
	global_inv scope:SCOPE_SE
	ds_store_b16 v19, v25
	ds_store_b16 v19, v36 offset:4
	ds_store_b16 v21, v37
	ds_store_b16 v21, v44 offset:4
	ds_store_b16 v20, v38
	ds_store_b16 v20, v51 offset:4
	ds_store_b16 v22, v39
	ds_store_b16 v22, v52 offset:4
	ds_store_b16 v23, v40
	ds_store_b16 v23, v53 offset:4
	ds_store_b16 v24, v41
	ds_store_b16 v24, v54 offset:4
	ds_store_b16 v31, v42
	ds_store_b16 v31, v43 offset:4
	v_lshlrev_b32_e32 v19, 2, v26
	global_wb scope:SCOPE_SE
	s_wait_dscnt 0x0
	s_barrier_signal -1
	s_barrier_wait -1
	global_inv scope:SCOPE_SE
	s_clause 0x3
	global_load_b128 v[22:25], v28, s[8:9] offset:8
	global_load_b64 v[30:31], v28, s[8:9] offset:24
	global_load_b128 v[26:29], v19, s[8:9] offset:8
	global_load_b64 v[32:33], v19, s[8:9] offset:24
	v_lshrrev_b16 v19, 2, v7
	v_lshrrev_b16 v20, 2, v8
	v_lshrrev_b32_e32 v37, 2, v7
	v_lshrrev_b32_e32 v36, 2, v8
	s_delay_alu instid0(VALU_DEP_4) | instskip(NEXT) | instid1(VALU_DEP_4)
	v_and_b32_e32 v19, 63, v19
	v_and_b32_e32 v20, 63, v20
	s_delay_alu instid0(VALU_DEP_4) | instskip(NEXT) | instid1(VALU_DEP_4)
	v_mul_u32_u24_e32 v37, 28, v37
	v_mul_lo_u32 v36, v36, 28
	s_delay_alu instid0(VALU_DEP_4) | instskip(NEXT) | instid1(VALU_DEP_4)
	v_mul_lo_u16 v19, v19, 37
	v_mul_lo_u16 v20, v20, 37
	s_delay_alu instid0(VALU_DEP_4) | instskip(NEXT) | instid1(VALU_DEP_3)
	v_or_b32_e32 v37, v37, v18
	v_lshrrev_b16 v21, 8, v19
	s_delay_alu instid0(VALU_DEP_3) | instskip(SKIP_1) | instid1(VALU_DEP_4)
	v_lshrrev_b16 v19, 8, v20
	v_or_b32_e32 v34, v36, v34
	v_lshl_add_u32 v37, v37, 1, v15
	s_delay_alu instid0(VALU_DEP_4) | instskip(NEXT) | instid1(VALU_DEP_4)
	v_mul_lo_u16 v20, v21, 28
	v_mul_lo_u16 v38, v19, 28
	s_delay_alu instid0(VALU_DEP_4) | instskip(SKIP_4) | instid1(VALU_DEP_4)
	v_lshl_add_u32 v15, v34, 1, v15
	v_and_b32_e32 v21, 0xffff, v21
	v_and_b32_e32 v19, 0xffff, v19
	v_sub_nc_u16 v20, v7, v20
	v_sub_nc_u16 v38, v8, v38
	v_mad_u32_u24 v21, 0x188, v21, 0
	s_delay_alu instid0(VALU_DEP_4) | instskip(NEXT) | instid1(VALU_DEP_4)
	v_mad_u32_u24 v19, 0x188, v19, 0
	v_and_b32_e32 v20, 0xff, v20
	s_delay_alu instid0(VALU_DEP_4)
	v_and_b32_e32 v18, 0xff, v38
	ds_load_u16 v38, v0
	ds_load_u16 v39, v13
	;; [unrolled: 1-line block ×7, first 2 shown]
	ds_load_u16 v51, v5 offset:2548
	ds_load_u16 v52, v5 offset:2352
	;; [unrolled: 1-line block ×7, first 2 shown]
	global_wb scope:SCOPE_SE
	s_wait_loadcnt_dscnt 0x0
	s_barrier_signal -1
	v_mul_u32_u24_e32 v36, 6, v20
	v_mul_u32_u24_e32 v34, 6, v18
	s_barrier_wait -1
	global_inv scope:SCOPE_SE
	v_lshlrev_b32_e32 v20, 1, v20
	v_lshlrev_b32_e32 v36, 2, v36
	;; [unrolled: 1-line block ×3, first 2 shown]
	v_lshrrev_b32_e32 v67, 16, v30
	v_lshrrev_b32_e32 v63, 16, v22
	;; [unrolled: 1-line block ×12, first 2 shown]
	v_mul_f16_e32 v75, v43, v63
	v_mul_f16_e32 v63, v48, v63
	v_mul_f16_e32 v76, v41, v64
	v_mul_f16_e32 v64, v46, v64
	v_mul_f16_e32 v77, v39, v65
	v_mul_f16_e32 v65, v35, v65
	v_mul_f16_e32 v78, v61, v66
	v_mul_f16_e32 v66, v58, v66
	v_mul_f16_e32 v79, v54, v67
	v_mul_f16_e32 v67, v56, v67
	v_mul_f16_e32 v80, v52, v68
	v_mul_f16_e32 v68, v50, v68
	v_mul_f16_e32 v81, v42, v69
	v_mul_f16_e32 v69, v47, v69
	v_mul_f16_e32 v82, v40, v70
	v_mul_f16_e32 v70, v45, v70
	v_mul_f16_e32 v83, v62, v71
	v_mul_f16_e32 v71, v59, v71
	v_mul_f16_e32 v84, v60, v72
	v_mul_f16_e32 v72, v57, v72
	v_mul_f16_e32 v85, v53, v73
	v_mul_f16_e32 v73, v55, v73
	v_mul_f16_e32 v86, v51, v74
	v_mul_f16_e32 v74, v49, v74
	v_fma_f16 v48, v48, v22, -v75
	v_fmac_f16_e32 v63, v43, v22
	v_fma_f16 v22, v46, v23, -v76
	v_fmac_f16_e32 v64, v41, v23
	;; [unrolled: 2-line block ×12, first 2 shown]
	v_add_f16_e32 v33, v48, v30
	v_add_f16_e32 v40, v22, v25
	;; [unrolled: 1-line block ×4, first 2 shown]
	v_sub_f16_e32 v30, v48, v30
	v_sub_f16_e32 v22, v22, v25
	v_add_f16_e32 v42, v23, v24
	v_sub_f16_e32 v23, v24, v23
	v_add_f16_e32 v45, v31, v32
	v_add_f16_e32 v47, v26, v29
	v_sub_f16_e32 v25, v64, v67
	v_add_f16_e32 v43, v65, v66
	v_sub_f16_e32 v24, v66, v65
	v_sub_f16_e32 v31, v31, v32
	;; [unrolled: 1-line block ×3, first 2 shown]
	v_add_f16_e32 v49, v27, v28
	v_sub_f16_e32 v27, v28, v27
	v_add_f16_e32 v51, v40, v33
	v_sub_f16_e32 v39, v63, v68
	v_add_f16_e32 v46, v69, v74
	v_add_f16_e32 v48, v70, v73
	v_sub_f16_e32 v32, v69, v74
	v_sub_f16_e32 v29, v70, v73
	;; [unrolled: 1-line block ×3, first 2 shown]
	v_add_f16_e32 v52, v41, v35
	v_sub_f16_e32 v53, v40, v33
	v_sub_f16_e32 v33, v33, v42
	;; [unrolled: 1-line block ×3, first 2 shown]
	v_add_f16_e32 v55, v23, v22
	v_sub_f16_e32 v57, v23, v22
	v_sub_f16_e32 v22, v22, v30
	v_add_f16_e32 v59, v47, v45
	v_sub_f16_e32 v54, v41, v35
	v_sub_f16_e32 v35, v35, v43
	;; [unrolled: 1-line block ×3, first 2 shown]
	v_add_f16_e32 v56, v24, v25
	v_sub_f16_e32 v58, v24, v25
	v_add_f16_e32 v63, v27, v26
	v_sub_f16_e32 v65, v27, v26
	v_sub_f16_e32 v26, v26, v31
	v_add_f16_e32 v42, v42, v51
	v_add_f16_e32 v50, v71, v72
	v_sub_f16_e32 v25, v25, v39
	v_add_f16_e32 v60, v48, v46
	v_add_f16_e32 v64, v28, v29
	v_sub_f16_e32 v66, v28, v29
	v_sub_f16_e32 v29, v29, v32
	v_add_f16_e32 v43, v43, v52
	v_sub_f16_e32 v23, v30, v23
	v_sub_f16_e32 v61, v47, v45
	;; [unrolled: 1-line block ×4, first 2 shown]
	v_add_f16_e32 v30, v55, v30
	v_mul_f16_e32 v33, 0x3a52, v33
	v_mul_f16_e32 v51, 0x2b26, v40
	;; [unrolled: 1-line block ×4, first 2 shown]
	v_add_f16_e32 v49, v49, v59
	v_sub_f16_e32 v24, v39, v24
	v_sub_f16_e32 v27, v31, v27
	v_add_f16_e32 v39, v56, v39
	v_mul_f16_e32 v35, 0x3a52, v35
	v_mul_f16_e32 v52, 0x2b26, v41
	;; [unrolled: 1-line block ×3, first 2 shown]
	v_add_f16_e32 v31, v63, v31
	v_mul_f16_e32 v63, 0xb846, v65
	v_mul_f16_e32 v65, 0x3b00, v26
	v_add_f16_e32 v17, v17, v42
	v_sub_f16_e32 v62, v48, v46
	v_sub_f16_e32 v46, v46, v50
	;; [unrolled: 1-line block ×3, first 2 shown]
	v_mul_f16_e32 v58, 0x3b00, v25
	v_add_f16_e32 v50, v50, v60
	v_sub_f16_e32 v28, v32, v28
	v_add_f16_e32 v32, v64, v32
	v_mul_f16_e32 v64, 0xb846, v66
	v_mul_f16_e32 v66, 0x3b00, v29
	v_add_f16_e32 v38, v38, v43
	v_mul_f16_e32 v45, 0x3a52, v45
	v_mul_f16_e32 v59, 0x2b26, v47
	v_fmamk_f16 v40, v40, 0x2b26, v33
	v_fma_f16 v51, v53, 0x39e0, -v51
	v_fma_f16 v33, v53, 0xb9e0, -v33
	v_fmamk_f16 v53, v23, 0x3574, v55
	v_fma_f16 v22, v22, 0x3b00, -v55
	v_fma_f16 v23, v23, 0xb574, -v57
	v_add_f16_e32 v16, v16, v49
	v_fmamk_f16 v41, v41, 0x2b26, v35
	v_fma_f16 v52, v54, 0x39e0, -v52
	v_fma_f16 v35, v54, 0xb9e0, -v35
	v_fmamk_f16 v54, v24, 0x3574, v56
	v_fmamk_f16 v57, v27, 0x3574, v63
	v_fma_f16 v26, v26, 0x3b00, -v63
	v_fma_f16 v27, v27, 0xb574, -v65
	v_fmamk_f16 v42, v42, 0xbcab, v17
	v_mul_f16_e32 v46, 0x3a52, v46
	v_mul_f16_e32 v60, 0x2b26, v48
	v_fma_f16 v25, v25, 0x3b00, -v56
	v_fma_f16 v24, v24, 0xb574, -v58
	v_add_f16_e32 v44, v44, v50
	v_fmamk_f16 v58, v28, 0x3574, v64
	v_fma_f16 v29, v29, 0x3b00, -v64
	v_fma_f16 v28, v28, 0xb574, -v66
	v_fmamk_f16 v43, v43, 0xbcab, v38
	v_fmamk_f16 v47, v47, 0x2b26, v45
	v_fma_f16 v55, v61, 0x39e0, -v59
	v_fma_f16 v45, v61, 0xb9e0, -v45
	v_fmac_f16_e32 v53, 0x370e, v30
	v_fmac_f16_e32 v22, 0x370e, v30
	;; [unrolled: 1-line block ×3, first 2 shown]
	v_fmamk_f16 v30, v49, 0xbcab, v16
	v_fmac_f16_e32 v54, 0x370e, v39
	v_fmac_f16_e32 v57, 0x370e, v31
	;; [unrolled: 1-line block ×4, first 2 shown]
	v_add_f16_e32 v31, v40, v42
	v_fmamk_f16 v48, v48, 0x2b26, v46
	v_fma_f16 v56, v62, 0x39e0, -v60
	v_fma_f16 v46, v62, 0xb9e0, -v46
	v_fmac_f16_e32 v25, 0x370e, v39
	v_fmac_f16_e32 v24, 0x370e, v39
	v_fmamk_f16 v39, v50, 0xbcab, v44
	v_add_f16_e32 v33, v33, v42
	v_fmac_f16_e32 v58, 0x370e, v32
	v_fmac_f16_e32 v29, 0x370e, v32
	v_fmac_f16_e32 v28, 0x370e, v32
	v_add_f16_e32 v32, v41, v43
	v_add_f16_e32 v40, v51, v42
	;; [unrolled: 1-line block ×12, first 2 shown]
	v_sub_f16_e32 v46, v32, v53
	v_sub_f16_e32 v51, v40, v25
	v_sub_f16_e32 v50, v35, v23
	v_add_f16_e32 v25, v25, v40
	v_add_f16_e32 v40, v28, v30
	v_sub_f16_e32 v28, v30, v28
	v_sub_f16_e32 v30, v42, v58
	v_add_f16_e32 v52, v22, v41
	v_sub_f16_e32 v24, v33, v24
	v_sub_f16_e32 v31, v31, v54
	v_add_f16_e32 v32, v53, v32
	v_add_f16_e32 v33, v58, v42
	v_sub_f16_e32 v53, v47, v29
	v_add_f16_e32 v29, v29, v47
	ds_store_b16 v37, v17
	ds_store_b16 v37, v45 offset:8
	ds_store_b16 v37, v49 offset:16
	;; [unrolled: 1-line block ×6, first 2 shown]
	ds_store_b16 v15, v16
	ds_store_b16 v15, v33 offset:8
	ds_store_b16 v15, v40 offset:16
	;; [unrolled: 1-line block ×6, first 2 shown]
	v_lshlrev_b32_e32 v30, 2, v34
	v_sub_f16_e32 v22, v41, v22
	v_add_f16_e32 v23, v23, v35
	v_sub_f16_e32 v35, v43, v57
	v_sub_f16_e32 v41, v39, v27
	v_add_f16_e32 v54, v26, v48
	v_sub_f16_e32 v26, v48, v26
	v_add_f16_e32 v27, v27, v39
	v_add_f16_e32 v39, v57, v43
	global_wb scope:SCOPE_SE
	s_wait_dscnt 0x0
	s_barrier_signal -1
	s_barrier_wait -1
	global_inv scope:SCOPE_SE
	ds_load_u16 v17, v0
	ds_load_u16 v33, v13
	;; [unrolled: 1-line block ×7, first 2 shown]
	ds_load_u16 v48, v5 offset:2548
	ds_load_u16 v49, v5 offset:2352
	;; [unrolled: 1-line block ×7, first 2 shown]
	global_wb scope:SCOPE_SE
	s_wait_dscnt 0x0
	s_barrier_signal -1
	s_barrier_wait -1
	global_inv scope:SCOPE_SE
	ds_store_b16 v37, v38
	ds_store_b16 v37, v46 offset:8
	ds_store_b16 v37, v50 offset:16
	ds_store_b16 v37, v52 offset:24
	ds_store_b16 v37, v22 offset:32
	ds_store_b16 v37, v23 offset:40
	ds_store_b16 v37, v32 offset:48
	ds_store_b16 v15, v44
	ds_store_b16 v15, v35 offset:8
	ds_store_b16 v15, v41 offset:16
	;; [unrolled: 1-line block ×6, first 2 shown]
	global_wb scope:SCOPE_SE
	s_wait_dscnt 0x0
	s_barrier_signal -1
	s_barrier_wait -1
	global_inv scope:SCOPE_SE
	s_clause 0x3
	global_load_b128 v[22:25], v36, s[8:9] offset:104
	global_load_b64 v[15:16], v36, s[8:9] offset:120
	global_load_b128 v[26:29], v30, s[8:9] offset:104
	global_load_b64 v[30:31], v30, s[8:9] offset:120
	v_add3_u32 v32, v21, v20, v14
	v_add3_u32 v34, v19, v18, v14
	ds_load_u16 v14, v0
	ds_load_u16 v18, v13
	;; [unrolled: 1-line block ×7, first 2 shown]
	ds_load_u16 v37, v5 offset:2548
	ds_load_u16 v38, v5 offset:2352
	;; [unrolled: 1-line block ×7, first 2 shown]
	global_wb scope:SCOPE_SE
	s_wait_loadcnt_dscnt 0x0
	s_barrier_signal -1
	s_barrier_wait -1
	global_inv scope:SCOPE_SE
	v_lshrrev_b32_e32 v60, 16, v15
	v_lshrrev_b32_e32 v52, 16, v22
	;; [unrolled: 1-line block ×10, first 2 shown]
	v_mul_f16_e32 v68, v35, v52
	v_mul_f16_e32 v52, v45, v52
	;; [unrolled: 1-line block ×7, first 2 shown]
	v_lshrrev_b32_e32 v64, 16, v28
	v_lshrrev_b32_e32 v65, 16, v29
	v_mul_f16_e32 v70, v18, v58
	v_mul_f16_e32 v58, v33, v58
	;; [unrolled: 1-line block ×13, first 2 shown]
	v_fma_f16 v45, v45, v22, -v68
	v_fmac_f16_e32 v52, v35, v22
	v_fma_f16 v22, v42, v23, -v69
	v_fmac_f16_e32 v54, v20, v23
	;; [unrolled: 2-line block ×3, first 2 shown]
	v_fma_f16 v15, v49, v16, -v73
	v_mul_f16_e32 v76, v50, v64
	v_mul_f16_e32 v64, v57, v64
	;; [unrolled: 1-line block ×4, first 2 shown]
	v_fma_f16 v20, v33, v24, -v70
	v_fmac_f16_e32 v58, v18, v24
	v_fma_f16 v18, v56, v25, -v71
	v_fmac_f16_e32 v59, v46, v25
	v_fmac_f16_e32 v61, v38, v16
	v_fma_f16 v16, v43, v26, -v74
	v_fmac_f16_e32 v62, v21, v26
	v_fma_f16 v21, v40, v27, -v75
	;; [unrolled: 2-line block ×4, first 2 shown]
	v_fmac_f16_e32 v67, v37, v31
	v_add_f16_e32 v27, v45, v15
	v_add_f16_e32 v30, v22, v23
	v_fma_f16 v19, v57, v28, -v76
	v_fmac_f16_e32 v64, v50, v28
	v_fma_f16 v24, v55, v29, -v77
	v_fmac_f16_e32 v65, v44, v29
	v_add_f16_e32 v28, v52, v61
	v_sub_f16_e32 v15, v45, v15
	v_sub_f16_e32 v29, v52, v61
	v_add_f16_e32 v31, v54, v60
	v_sub_f16_e32 v22, v22, v23
	v_sub_f16_e32 v23, v54, v60
	v_add_f16_e32 v33, v20, v18
	v_add_f16_e32 v35, v58, v59
	v_sub_f16_e32 v18, v18, v20
	v_sub_f16_e32 v20, v59, v58
	v_add_f16_e32 v37, v16, v26
	v_add_f16_e32 v38, v62, v67
	;; [unrolled: 1-line block ×5, first 2 shown]
	v_sub_f16_e32 v16, v16, v26
	v_sub_f16_e32 v26, v62, v67
	;; [unrolled: 1-line block ×4, first 2 shown]
	v_add_f16_e32 v41, v19, v24
	v_sub_f16_e32 v19, v24, v19
	v_sub_f16_e32 v24, v65, v64
	v_add_f16_e32 v42, v64, v65
	v_add_f16_e32 v44, v31, v28
	v_sub_f16_e32 v45, v30, v27
	v_sub_f16_e32 v46, v31, v28
	;; [unrolled: 1-line block ×6, first 2 shown]
	v_add_f16_e32 v48, v18, v22
	v_add_f16_e32 v49, v20, v23
	v_sub_f16_e32 v50, v18, v22
	v_sub_f16_e32 v51, v20, v23
	;; [unrolled: 1-line block ×4, first 2 shown]
	v_add_f16_e32 v52, v39, v37
	v_add_f16_e32 v53, v40, v38
	;; [unrolled: 1-line block ×4, first 2 shown]
	v_sub_f16_e32 v59, v24, v25
	v_sub_f16_e32 v25, v25, v26
	;; [unrolled: 1-line block ×10, first 2 shown]
	v_add_f16_e32 v56, v19, v21
	v_sub_f16_e32 v58, v19, v21
	v_sub_f16_e32 v21, v21, v16
	v_add_f16_e32 v35, v35, v44
	v_add_f16_e32 v15, v48, v15
	;; [unrolled: 1-line block ×3, first 2 shown]
	v_mul_f16_e32 v27, 0x3a52, v27
	v_mul_f16_e32 v28, 0x3a52, v28
	v_mul_f16_e32 v43, 0x2b26, v30
	v_mul_f16_e32 v44, 0x2b26, v31
	v_mul_f16_e32 v48, 0xb846, v50
	v_mul_f16_e32 v49, 0xb846, v51
	v_mul_f16_e32 v50, 0x3b00, v22
	v_mul_f16_e32 v51, 0x3b00, v23
	v_add_f16_e32 v41, v41, v52
	v_add_f16_e32 v42, v42, v53
	;; [unrolled: 1-line block ×3, first 2 shown]
	v_sub_f16_e32 v24, v26, v24
	v_add_f16_e32 v26, v57, v26
	v_mul_f16_e32 v57, 0xb846, v59
	v_mul_f16_e32 v59, 0x3b00, v25
	v_sub_f16_e32 v19, v16, v19
	v_add_f16_e32 v16, v56, v16
	v_mul_f16_e32 v37, 0x3a52, v37
	v_mul_f16_e32 v38, 0x3a52, v38
	;; [unrolled: 1-line block ×6, first 2 shown]
	v_add_f16_e32 v60, v14, v35
	v_fmamk_f16 v14, v30, 0x2b26, v27
	v_fmamk_f16 v30, v31, 0x2b26, v28
	v_fma_f16 v31, v45, 0x39e0, -v43
	v_fma_f16 v43, v46, 0x39e0, -v44
	;; [unrolled: 1-line block ×4, first 2 shown]
	v_fmamk_f16 v44, v18, 0x3574, v48
	v_fmamk_f16 v45, v20, 0x3574, v49
	v_fma_f16 v22, v22, 0x3b00, -v48
	v_fma_f16 v23, v23, 0x3b00, -v49
	;; [unrolled: 1-line block ×4, first 2 shown]
	v_add_f16_e32 v46, v47, v41
	v_add_f16_e32 v36, v36, v42
	v_fmamk_f16 v33, v33, 0xbcab, v17
	v_fmamk_f16 v50, v24, 0x3574, v57
	v_fma_f16 v25, v25, 0x3b00, -v57
	v_fma_f16 v24, v24, 0xb574, -v59
	v_fmamk_f16 v39, v39, 0x2b26, v37
	v_fmamk_f16 v40, v40, 0x2b26, v38
	v_fma_f16 v47, v54, 0x39e0, -v52
	v_fma_f16 v48, v55, 0x39e0, -v53
	;; [unrolled: 1-line block ×4, first 2 shown]
	v_fmamk_f16 v49, v19, 0x3574, v56
	v_fma_f16 v21, v21, 0x3b00, -v56
	v_fma_f16 v19, v19, 0xb574, -v58
	v_fmamk_f16 v35, v35, 0xbcab, v60
	v_fmac_f16_e32 v44, 0x370e, v15
	v_fmac_f16_e32 v45, 0x370e, v29
	;; [unrolled: 1-line block ×6, first 2 shown]
	v_fmamk_f16 v15, v41, 0xbcab, v46
	v_fmamk_f16 v29, v42, 0xbcab, v36
	v_add_f16_e32 v14, v14, v33
	v_add_f16_e32 v27, v27, v33
	v_fmac_f16_e32 v50, 0x370e, v26
	v_fmac_f16_e32 v25, 0x370e, v26
	;; [unrolled: 1-line block ×3, first 2 shown]
	v_add_f16_e32 v26, v31, v33
	v_fmac_f16_e32 v49, 0x370e, v16
	v_fmac_f16_e32 v21, 0x370e, v16
	;; [unrolled: 1-line block ×3, first 2 shown]
	v_add_f16_e32 v16, v30, v35
	v_add_f16_e32 v30, v43, v35
	;; [unrolled: 1-line block ×11, first 2 shown]
	v_sub_f16_e32 v42, v26, v23
	v_sub_f16_e32 v38, v16, v44
	;; [unrolled: 1-line block ×3, first 2 shown]
	v_add_f16_e32 v43, v22, v30
	v_add_f16_e32 v23, v23, v26
	v_sub_f16_e32 v30, v30, v22
	v_sub_f16_e32 v20, v27, v20
	v_add_f16_e32 v28, v18, v28
	v_sub_f16_e32 v14, v14, v45
	v_add_f16_e32 v44, v44, v16
	v_add_f16_e32 v16, v50, v31
	v_add_f16_e32 v18, v24, v15
	v_sub_f16_e32 v47, v29, v19
	v_sub_f16_e32 v22, v35, v25
	v_add_f16_e32 v25, v25, v35
	v_sub_f16_e32 v15, v15, v24
	v_add_f16_e32 v29, v19, v29
	v_sub_f16_e32 v19, v31, v50
	v_add_f16_e32 v48, v21, v39
	v_sub_f16_e32 v35, v39, v21
	ds_store_b16 v32, v17
	ds_store_b16 v32, v37 offset:56
	ds_store_b16 v32, v40 offset:112
	;; [unrolled: 1-line block ×6, first 2 shown]
	ds_store_b16 v34, v46
	ds_store_b16 v34, v16 offset:56
	ds_store_b16 v34, v18 offset:112
	;; [unrolled: 1-line block ×6, first 2 shown]
	global_wb scope:SCOPE_SE
	s_wait_dscnt 0x0
	s_barrier_signal -1
	s_barrier_wait -1
	global_inv scope:SCOPE_SE
	ds_load_u16 v15, v0
	ds_load_u16 v22, v13
	;; [unrolled: 1-line block ×7, first 2 shown]
	ds_load_u16 v19, v5 offset:2548
	ds_load_u16 v26, v5 offset:2352
	;; [unrolled: 1-line block ×7, first 2 shown]
	v_sub_f16_e32 v45, v33, v49
	v_add_f16_e32 v31, v49, v33
	global_wb scope:SCOPE_SE
	s_wait_dscnt 0x0
	s_barrier_signal -1
	s_barrier_wait -1
	global_inv scope:SCOPE_SE
	ds_store_b16 v32, v60
	ds_store_b16 v32, v38 offset:56
	ds_store_b16 v32, v41 offset:112
	;; [unrolled: 1-line block ×6, first 2 shown]
	ds_store_b16 v34, v36
	ds_store_b16 v34, v45 offset:56
	ds_store_b16 v34, v47 offset:112
	;; [unrolled: 1-line block ×6, first 2 shown]
	global_wb scope:SCOPE_SE
	s_wait_dscnt 0x0
	s_barrier_signal -1
	s_barrier_wait -1
	global_inv scope:SCOPE_SE
	s_and_saveexec_b32 s0, vcc_lo
	s_cbranch_execz .LBB0_15
; %bb.14:
	v_mul_u32_u24_e32 v28, 6, v7
	v_mul_i32_i24_e32 v32, 6, v8
	v_mul_lo_u32 v8, s3, v3
	v_mul_lo_u32 v40, s2, v4
	v_mad_co_u64_u32 v[3:4], null, s2, v3, 0
	v_dual_mov_b32 v33, 0 :: v_dual_lshlrev_b32 v34, 2, v28
	s_clause 0x1
	global_load_b128 v[28:31], v34, s[8:9] offset:776
	global_load_b64 v[36:37], v34, s[8:9] offset:792
	v_lshlrev_b64_e32 v[32:33], 2, v[32:33]
	v_add3_u32 v4, v4, v40, v8
	s_delay_alu instid0(VALU_DEP_1) | instskip(NEXT) | instid1(VALU_DEP_3)
	v_lshlrev_b64_e32 v[3:4], 2, v[3:4]
	v_add_co_u32 v38, vcc_lo, s8, v32
	s_wait_alu 0xfffd
	s_delay_alu instid0(VALU_DEP_4)
	v_add_co_ci_u32_e32 v39, vcc_lo, s9, v33, vcc_lo
	s_clause 0x1
	global_load_b128 v[32:35], v[38:39], off offset:776
	global_load_b64 v[38:39], v[38:39], off offset:792
	ds_load_u16 v53, v12
	ds_load_u16 v54, v13
	v_mul_hi_u32 v12, 0x5397829d, v7
	ds_load_u16 v55, v11
	ds_load_u16 v56, v10
	v_add_nc_u32_e32 v10, 0x62, v7
	ds_load_u16 v57, v9
	ds_load_u16 v58, v6
	ds_load_u16 v59, v5 offset:2548
	ds_load_u16 v60, v5 offset:2352
	;; [unrolled: 1-line block ×7, first 2 shown]
	ds_load_u16 v66, v0
	v_mul_hi_u32 v6, 0x5397829d, v10
	v_lshrrev_b32_e32 v9, 6, v12
	v_lshlrev_b64_e32 v[0:1], 2, v[1:2]
	v_add_co_u32 v3, vcc_lo, s6, v3
	s_wait_alu 0xfffd
	v_add_co_ci_u32_e32 v4, vcc_lo, s7, v4, vcc_lo
	v_mul_lo_u32 v8, 0xc4, v9
	v_lshrrev_b32_e32 v13, 6, v6
	v_add_co_u32 v67, vcc_lo, v3, v0
	s_wait_alu 0xfffd
	v_add_co_ci_u32_e32 v68, vcc_lo, v4, v1, vcc_lo
	s_delay_alu instid0(VALU_DEP_3) | instskip(SKIP_1) | instid1(VALU_DEP_1)
	v_mul_lo_u32 v2, 0xc4, v13
	v_sub_nc_u32_e32 v44, v7, v8
	v_add_nc_u32_e32 v45, 0xc4, v44
	v_add_nc_u32_e32 v47, 0x188, v44
	;; [unrolled: 1-line block ×3, first 2 shown]
	v_mad_co_u64_u32 v[0:1], null, s16, v44, 0
	s_delay_alu instid0(VALU_DEP_4) | instskip(NEXT) | instid1(VALU_DEP_4)
	v_mad_co_u64_u32 v[3:4], null, s16, v45, 0
	v_mad_co_u64_u32 v[5:6], null, s16, v47, 0
	s_delay_alu instid0(VALU_DEP_4) | instskip(SKIP_3) | instid1(VALU_DEP_3)
	v_mad_co_u64_u32 v[7:8], null, s16, v48, 0
	v_sub_nc_u32_e32 v2, v10, v2
	v_add_nc_u32_e32 v49, 0x310, v44
	v_add_nc_u32_e32 v50, 0x3d4, v44
	v_mad_co_u64_u32 v[42:43], null, 0x55c, v13, v[2:3]
	v_mad_co_u64_u32 v[1:2], null, s17, v44, v[1:2]
	v_mov_b32_e32 v2, v4
	v_mov_b32_e32 v4, v6
	;; [unrolled: 1-line block ×3, first 2 shown]
	v_mad_co_u64_u32 v[9:10], null, s16, v49, 0
	v_add_nc_u32_e32 v51, 0x498, v44
	v_mad_co_u64_u32 v[11:12], null, s16, v50, 0
	v_mad_co_u64_u32 v[43:44], null, s16, v42, 0
	s_delay_alu instid0(VALU_DEP_4) | instskip(NEXT) | instid1(VALU_DEP_4)
	v_dual_mov_b32 v8, v10 :: v_dual_add_nc_u32 v13, 0xc4, v42
	v_mad_co_u64_u32 v[40:41], null, s16, v51, 0
	s_delay_alu instid0(VALU_DEP_4)
	v_mov_b32_e32 v10, v12
	v_mad_co_u64_u32 v[45:46], null, s17, v45, v[2:3]
	v_mad_co_u64_u32 v[46:47], null, s17, v47, v[4:5]
	;; [unrolled: 1-line block ×3, first 2 shown]
	v_mov_b32_e32 v12, v41
	v_mad_co_u64_u32 v[48:49], null, s17, v49, v[8:9]
	v_mad_co_u64_u32 v[49:50], null, s17, v50, v[10:11]
	s_delay_alu instid0(VALU_DEP_3)
	v_mad_co_u64_u32 v[50:51], null, s17, v51, v[12:13]
	v_mad_co_u64_u32 v[51:52], null, s16, v13, 0
	v_mov_b32_e32 v2, v44
	v_mov_b32_e32 v4, v45
	v_lshlrev_b64_e32 v[0:1], 2, v[0:1]
	v_mov_b32_e32 v6, v46
	v_mov_b32_e32 v8, v47
	v_mad_co_u64_u32 v[44:45], null, s17, v42, v[2:3]
	v_lshlrev_b64_e32 v[3:4], 2, v[3:4]
	v_mov_b32_e32 v2, v52
	v_lshlrev_b64_e32 v[5:6], 2, v[5:6]
	v_add_co_u32 v0, vcc_lo, v67, v0
	v_mov_b32_e32 v10, v48
	s_wait_alu 0xfffd
	v_add_co_ci_u32_e32 v1, vcc_lo, v68, v1, vcc_lo
	v_lshlrev_b64_e32 v[7:8], 2, v[7:8]
	v_mad_co_u64_u32 v[45:46], null, s17, v13, v[2:3]
	v_add_co_u32 v2, vcc_lo, v67, v3
	v_mov_b32_e32 v12, v49
	s_wait_alu 0xfffd
	v_add_co_ci_u32_e32 v3, vcc_lo, v68, v4, vcc_lo
	v_lshlrev_b64_e32 v[9:10], 2, v[9:10]
	v_add_co_u32 v4, vcc_lo, v67, v5
	s_wait_alu 0xfffd
	v_add_co_ci_u32_e32 v5, vcc_lo, v68, v6, vcc_lo
	v_lshlrev_b64_e32 v[11:12], 2, v[11:12]
	v_add_co_u32 v6, vcc_lo, v67, v7
	s_wait_alu 0xfffd
	v_add_co_ci_u32_e32 v7, vcc_lo, v68, v8, vcc_lo
	v_add_co_u32 v8, vcc_lo, v67, v9
	s_wait_alu 0xfffd
	v_add_co_ci_u32_e32 v9, vcc_lo, v68, v10, vcc_lo
	;; [unrolled: 3-line block ×3, first 2 shown]
	v_lshlrev_b64_e32 v[12:13], 2, v[43:44]
	v_mov_b32_e32 v41, v50
	s_delay_alu instid0(VALU_DEP_1) | instskip(NEXT) | instid1(VALU_DEP_1)
	v_lshlrev_b64_e32 v[40:41], 2, v[40:41]
	v_add_co_u32 v40, vcc_lo, v67, v40
	s_wait_alu 0xfffd
	s_delay_alu instid0(VALU_DEP_2)
	v_add_co_ci_u32_e32 v41, vcc_lo, v68, v41, vcc_lo
	v_add_co_u32 v12, vcc_lo, v67, v12
	s_wait_alu 0xfffd
	v_add_co_ci_u32_e32 v13, vcc_lo, v68, v13, vcc_lo
	s_wait_loadcnt 0x3
	v_lshrrev_b32_e32 v43, 16, v28
	v_lshrrev_b32_e32 v44, 16, v29
	s_wait_loadcnt 0x2
	v_lshrrev_b32_e32 v46, 16, v37
	v_lshrrev_b32_e32 v49, 16, v36
	;; [unrolled: 1-line block ×4, first 2 shown]
	s_wait_dscnt 0x8
	v_mul_f16_e32 v50, v58, v43
	s_wait_dscnt 0x6
	v_mul_f16_e32 v52, v60, v46
	v_mul_f16_e32 v71, v56, v44
	s_wait_dscnt 0x4
	v_mul_f16_e32 v72, v62, v49
	v_mul_f16_e32 v46, v26, v46
	;; [unrolled: 1-line block ×5, first 2 shown]
	s_wait_dscnt 0x2
	v_mul_f16_e32 v69, v64, v47
	v_mul_f16_e32 v70, v54, v48
	;; [unrolled: 1-line block ×4, first 2 shown]
	s_wait_loadcnt 0x1
	v_lshrrev_b32_e32 v73, 16, v32
	v_lshrrev_b32_e32 v74, 16, v33
	;; [unrolled: 1-line block ×4, first 2 shown]
	s_wait_loadcnt 0x0
	v_lshrrev_b32_e32 v77, 16, v38
	v_lshrrev_b32_e32 v78, 16, v39
	v_fma_f16 v24, v24, v28, -v50
	v_fma_f16 v26, v26, v37, -v52
	;; [unrolled: 1-line block ×4, first 2 shown]
	v_fmac_f16_e32 v46, v37, v60
	v_fmac_f16_e32 v43, v28, v58
	;; [unrolled: 1-line block ×4, first 2 shown]
	v_fma_f16 v27, v27, v31, -v69
	v_fma_f16 v22, v22, v30, -v70
	v_fmac_f16_e32 v48, v30, v54
	v_fmac_f16_e32 v47, v31, v64
	v_mul_f16_e32 v28, v57, v73
	v_mul_f16_e32 v29, v59, v78
	v_mul_f16_e32 v30, v63, v76
	s_wait_dscnt 0x1
	v_mul_f16_e32 v31, v65, v75
	v_mul_f16_e32 v36, v55, v74
	;; [unrolled: 1-line block ×9, first 2 shown]
	v_sub_f16_e32 v62, v24, v26
	v_sub_f16_e32 v69, v23, v25
	v_add_f16_e32 v70, v43, v46
	v_add_f16_e32 v72, v44, v49
	;; [unrolled: 1-line block ×4, first 2 shown]
	v_sub_f16_e32 v64, v27, v22
	v_add_f16_e32 v71, v47, v48
	v_add_f16_e32 v22, v27, v22
	v_sub_f16_e32 v25, v43, v46
	v_sub_f16_e32 v26, v47, v48
	;; [unrolled: 1-line block ×3, first 2 shown]
	v_fma_f16 v17, v17, v32, -v28
	v_fma_f16 v19, v19, v39, -v29
	v_fma_f16 v20, v20, v35, -v30
	v_fma_f16 v21, v21, v34, -v31
	v_fma_f16 v16, v16, v33, -v36
	v_fma_f16 v18, v18, v38, -v37
	v_fmac_f16_e32 v50, v39, v59
	v_fmac_f16_e32 v52, v32, v57
	v_fmac_f16_e32 v54, v34, v65
	v_fmac_f16_e32 v56, v35, v63
	v_fmac_f16_e32 v58, v38, v61
	v_fmac_f16_e32 v60, v33, v55
	v_add_f16_e32 v33, v70, v72
	v_add_f16_e32 v36, v24, v23
	v_sub_f16_e32 v29, v64, v69
	v_sub_f16_e32 v31, v70, v71
	;; [unrolled: 1-line block ×7, first 2 shown]
	v_add_f16_e32 v26, v26, v27
	v_sub_f16_e32 v39, v69, v62
	v_sub_f16_e32 v23, v23, v24
	;; [unrolled: 1-line block ×6, first 2 shown]
	v_add_f16_e32 v47, v52, v50
	v_add_f16_e32 v48, v56, v54
	v_add_f16_e32 v49, v60, v58
	v_add_f16_e32 v17, v17, v19
	v_add_f16_e32 v19, v20, v21
	v_add_f16_e32 v16, v16, v18
	v_add_f16_e32 v33, v71, v33
	v_add_f16_e32 v22, v22, v36
	v_add_f16_e32 v30, v64, v69
	v_sub_f16_e32 v18, v52, v50
	v_sub_f16_e32 v20, v56, v54
	;; [unrolled: 1-line block ×5, first 2 shown]
	v_mul_f16_e32 v29, 0xb846, v29
	v_mul_f16_e32 v50, 0x3a52, v31
	;; [unrolled: 1-line block ×6, first 2 shown]
	v_add_f16_e32 v25, v25, v26
	v_mul_f16_e32 v26, 0x3b00, v39
	v_sub_f16_e32 v54, v27, v44
	v_sub_f16_e32 v55, v44, v46
	v_add_f16_e32 v44, v44, v46
	v_sub_f16_e32 v56, v47, v48
	v_sub_f16_e32 v57, v48, v49
	v_add_f16_e32 v58, v47, v49
	;; [unrolled: 3-line block ×3, first 2 shown]
	v_sub_f16_e32 v47, v49, v47
	s_wait_dscnt 0x0
	v_add_f16_e32 v49, v66, v33
	v_add_f16_e32 v15, v15, v22
	v_mul_f16_e32 v38, 0x3b00, v24
	v_add_f16_e32 v30, v62, v30
	v_sub_f16_e32 v62, v18, v20
	v_sub_f16_e32 v63, v20, v21
	v_add_f16_e32 v20, v20, v21
	v_sub_f16_e32 v46, v46, v27
	v_sub_f16_e32 v16, v16, v17
	;; [unrolled: 1-line block ×3, first 2 shown]
	v_fmamk_f16 v21, v28, 0x3574, v29
	v_fmamk_f16 v31, v31, 0x3a52, v32
	;; [unrolled: 1-line block ×4, first 2 shown]
	v_fma_f16 v26, v28, 0xb574, -v26
	v_fma_f16 v28, v43, 0xb9e0, -v50
	;; [unrolled: 1-line block ×7, first 2 shown]
	v_add_f16_e32 v27, v27, v44
	v_add_f16_e32 v39, v48, v58
	v_mul_f16_e32 v43, 0x3a52, v59
	v_mul_f16_e32 v44, 0x2b26, v60
	v_add_f16_e32 v19, v19, v61
	v_fmamk_f16 v33, v33, 0xbcab, v49
	v_fmamk_f16 v22, v22, 0xbcab, v15
	v_fma_f16 v37, v37, 0xb574, -v38
	v_mul_f16_e32 v35, 0xb846, v55
	v_add_f16_e32 v18, v18, v20
	v_mul_f16_e32 v20, 0x3b00, v46
	v_mul_f16_e32 v48, 0xb846, v63
	;; [unrolled: 1-line block ×3, first 2 shown]
	v_fmac_f16_e32 v21, 0x370e, v30
	v_fmac_f16_e32 v64, 0x370e, v25
	;; [unrolled: 1-line block ×4, first 2 shown]
	v_pack_b32_f16 v15, v15, v49
	v_add_f16_e32 v49, v53, v39
	v_fmamk_f16 v53, v59, 0x3a52, v44
	v_add_f16_e32 v14, v14, v19
	v_fma_f16 v43, v16, 0xb9e0, -v43
	v_fma_f16 v16, v16, 0x39e0, -v44
	v_add_f16_e32 v31, v31, v33
	v_add_f16_e32 v34, v34, v22
	;; [unrolled: 1-line block ×5, first 2 shown]
	v_fmac_f16_e32 v37, 0x370e, v25
	v_fmac_f16_e32 v29, 0x370e, v30
	v_fmamk_f16 v25, v54, 0x3574, v35
	v_fma_f16 v20, v54, 0xb574, -v20
	v_fma_f16 v35, v46, 0x3b00, -v35
	v_add_f16_e32 v32, v32, v33
	v_fmamk_f16 v55, v62, 0x3574, v48
	v_fma_f16 v52, v62, 0xb574, -v52
	v_fma_f16 v17, v17, 0x3b00, -v48
	global_store_b32 v[0:1], v15, off
	v_fmamk_f16 v1, v19, 0xbcab, v14
	v_add_f16_e32 v15, v21, v31
	v_add_f16_e32 v19, v26, v28
	;; [unrolled: 1-line block ×3, first 2 shown]
	v_sub_f16_e32 v22, v22, v24
	v_sub_f16_e32 v24, v28, v26
	;; [unrolled: 1-line block ×3, first 2 shown]
	v_add_f16_e32 v28, v64, v34
	v_add_f16_e32 v26, v37, v44
	v_fmac_f16_e32 v25, 0x370e, v27
	v_fmac_f16_e32 v20, 0x370e, v27
	;; [unrolled: 1-line block ×3, first 2 shown]
	v_sub_f16_e32 v27, v32, v29
	v_add_f16_e32 v29, v29, v32
	v_fmac_f16_e32 v55, 0x370e, v18
	v_fmac_f16_e32 v52, 0x370e, v18
	;; [unrolled: 1-line block ×3, first 2 shown]
	v_sub_f16_e32 v18, v34, v64
	v_sub_f16_e32 v23, v44, v37
	v_mul_f16_e32 v36, 0x3a52, v56
	v_add_f16_e32 v31, v53, v1
	v_add_f16_e32 v34, v43, v1
	v_add_f16_e32 v1, v16, v1
	v_pack_b32_f16 v16, v28, v21
	v_pack_b32_f16 v21, v26, v24
	;; [unrolled: 1-line block ×7, first 2 shown]
	v_mul_f16_e32 v38, 0x2b26, v57
	v_fma_f16 v36, v47, 0xb9e0, -v36
	v_fmamk_f16 v0, v39, 0xbcab, v49
	s_clause 0x4
	global_store_b32 v[2:3], v16, off
	global_store_b32 v[4:5], v21, off
	;; [unrolled: 1-line block ×5, first 2 shown]
	v_add_nc_u32_e32 v8, 0x188, v42
	v_add_nc_u32_e32 v10, 0x24c, v42
	s_clause 0x1
	global_store_b32 v[40:41], v15, off
	global_store_b32 v[12:13], v14, off
	v_add_nc_u32_e32 v12, 0x310, v42
	v_fmamk_f16 v30, v56, 0x3a52, v38
	v_fma_f16 v38, v47, 0x39e0, -v38
	v_add_f16_e32 v32, v36, v0
	v_mad_co_u64_u32 v[2:3], null, s16, v8, 0
	v_mad_co_u64_u32 v[4:5], null, s16, v10, 0
	;; [unrolled: 1-line block ×3, first 2 shown]
	v_add_f16_e32 v30, v30, v0
	v_add_f16_e32 v0, v38, v0
	;; [unrolled: 1-line block ×3, first 2 shown]
	v_sub_f16_e32 v27, v34, v52
	v_sub_f16_e32 v20, v32, v20
	v_add_f16_e32 v32, v52, v34
	v_mov_b32_e32 v52, v45
	v_mad_co_u64_u32 v[8:9], null, s17, v8, v[3:4]
	v_sub_f16_e32 v28, v0, v35
	v_add_f16_e32 v29, v17, v1
	v_add_f16_e32 v33, v35, v0
	v_sub_f16_e32 v17, v1, v17
	v_lshlrev_b64_e32 v[0:1], 2, v[51:52]
	v_add_nc_u32_e32 v14, 0x3d4, v42
	v_mad_co_u64_u32 v[9:10], null, s17, v10, v[5:6]
	v_mov_b32_e32 v5, v7
	v_add_f16_e32 v18, v25, v30
	v_sub_f16_e32 v25, v30, v25
	v_add_f16_e32 v30, v55, v31
	v_mad_co_u64_u32 v[10:11], null, s16, v14, 0
	v_add_co_u32 v0, vcc_lo, v67, v0
	v_mov_b32_e32 v3, v8
	v_mad_co_u64_u32 v[7:8], null, s17, v12, v[5:6]
	v_add_nc_u32_e32 v12, 0x498, v42
	s_wait_alu 0xfffd
	v_add_co_ci_u32_e32 v1, vcc_lo, v68, v1, vcc_lo
	v_pack_b32_f16 v13, v30, v25
	v_mov_b32_e32 v5, v9
	v_mad_co_u64_u32 v[8:9], null, s16, v12, 0
	v_lshlrev_b64_e32 v[6:7], 2, v[6:7]
	global_store_b32 v[0:1], v13, off
	v_lshlrev_b64_e32 v[0:1], 2, v[2:3]
	v_mov_b32_e32 v2, v11
	v_lshlrev_b64_e32 v[4:5], 2, v[4:5]
	v_sub_f16_e32 v23, v31, v55
	s_delay_alu instid0(VALU_DEP_3) | instskip(SKIP_4) | instid1(VALU_DEP_3)
	v_mad_co_u64_u32 v[2:3], null, s17, v14, v[2:3]
	v_mov_b32_e32 v3, v9
	v_add_co_u32 v0, vcc_lo, v67, v0
	s_wait_alu 0xfffd
	v_add_co_ci_u32_e32 v1, vcc_lo, v68, v1, vcc_lo
	v_mad_co_u64_u32 v[12:13], null, s17, v12, v[3:4]
	v_mov_b32_e32 v11, v2
	v_add_co_u32 v2, vcc_lo, v67, v4
	s_wait_alu 0xfffd
	v_add_co_ci_u32_e32 v3, vcc_lo, v68, v5, vcc_lo
	s_delay_alu instid0(VALU_DEP_3) | instskip(SKIP_4) | instid1(VALU_DEP_3)
	v_lshlrev_b64_e32 v[4:5], 2, v[10:11]
	v_mov_b32_e32 v9, v12
	v_add_co_u32 v6, vcc_lo, v67, v6
	s_wait_alu 0xfffd
	v_add_co_ci_u32_e32 v7, vcc_lo, v68, v7, vcc_lo
	v_lshlrev_b64_e32 v[8:9], 2, v[8:9]
	v_add_co_u32 v4, vcc_lo, v67, v4
	v_pack_b32_f16 v14, v32, v20
	v_pack_b32_f16 v13, v17, v33
	s_wait_alu 0xfffd
	v_add_co_ci_u32_e32 v5, vcc_lo, v68, v5, vcc_lo
	v_pack_b32_f16 v10, v29, v28
	v_add_co_u32 v8, vcc_lo, v67, v8
	v_pack_b32_f16 v11, v27, v26
	s_wait_alu 0xfffd
	v_add_co_ci_u32_e32 v9, vcc_lo, v68, v9, vcc_lo
	v_pack_b32_f16 v12, v23, v18
	s_clause 0x4
	global_store_b32 v[0:1], v14, off
	global_store_b32 v[2:3], v13, off
	;; [unrolled: 1-line block ×5, first 2 shown]
.LBB0_15:
	s_nop 0
	s_sendmsg sendmsg(MSG_DEALLOC_VGPRS)
	s_endpgm
	.section	.rodata,"a",@progbits
	.p2align	6, 0x0
	.amdhsa_kernel fft_rtc_fwd_len1372_factors_2_2_7_7_7_wgs_196_tpt_98_halfLds_half_op_CI_CI_sbrr_dirReg
		.amdhsa_group_segment_fixed_size 0
		.amdhsa_private_segment_fixed_size 0
		.amdhsa_kernarg_size 104
		.amdhsa_user_sgpr_count 2
		.amdhsa_user_sgpr_dispatch_ptr 0
		.amdhsa_user_sgpr_queue_ptr 0
		.amdhsa_user_sgpr_kernarg_segment_ptr 1
		.amdhsa_user_sgpr_dispatch_id 0
		.amdhsa_user_sgpr_private_segment_size 0
		.amdhsa_wavefront_size32 1
		.amdhsa_uses_dynamic_stack 0
		.amdhsa_enable_private_segment 0
		.amdhsa_system_sgpr_workgroup_id_x 1
		.amdhsa_system_sgpr_workgroup_id_y 0
		.amdhsa_system_sgpr_workgroup_id_z 0
		.amdhsa_system_sgpr_workgroup_info 0
		.amdhsa_system_vgpr_workitem_id 0
		.amdhsa_next_free_vgpr 87
		.amdhsa_next_free_sgpr 43
		.amdhsa_reserve_vcc 1
		.amdhsa_float_round_mode_32 0
		.amdhsa_float_round_mode_16_64 0
		.amdhsa_float_denorm_mode_32 3
		.amdhsa_float_denorm_mode_16_64 3
		.amdhsa_fp16_overflow 0
		.amdhsa_workgroup_processor_mode 1
		.amdhsa_memory_ordered 1
		.amdhsa_forward_progress 0
		.amdhsa_round_robin_scheduling 0
		.amdhsa_exception_fp_ieee_invalid_op 0
		.amdhsa_exception_fp_denorm_src 0
		.amdhsa_exception_fp_ieee_div_zero 0
		.amdhsa_exception_fp_ieee_overflow 0
		.amdhsa_exception_fp_ieee_underflow 0
		.amdhsa_exception_fp_ieee_inexact 0
		.amdhsa_exception_int_div_zero 0
	.end_amdhsa_kernel
	.text
.Lfunc_end0:
	.size	fft_rtc_fwd_len1372_factors_2_2_7_7_7_wgs_196_tpt_98_halfLds_half_op_CI_CI_sbrr_dirReg, .Lfunc_end0-fft_rtc_fwd_len1372_factors_2_2_7_7_7_wgs_196_tpt_98_halfLds_half_op_CI_CI_sbrr_dirReg
                                        ; -- End function
	.section	.AMDGPU.csdata,"",@progbits
; Kernel info:
; codeLenInByte = 11172
; NumSgprs: 45
; NumVgprs: 87
; ScratchSize: 0
; MemoryBound: 0
; FloatMode: 240
; IeeeMode: 1
; LDSByteSize: 0 bytes/workgroup (compile time only)
; SGPRBlocks: 5
; VGPRBlocks: 10
; NumSGPRsForWavesPerEU: 45
; NumVGPRsForWavesPerEU: 87
; Occupancy: 16
; WaveLimiterHint : 1
; COMPUTE_PGM_RSRC2:SCRATCH_EN: 0
; COMPUTE_PGM_RSRC2:USER_SGPR: 2
; COMPUTE_PGM_RSRC2:TRAP_HANDLER: 0
; COMPUTE_PGM_RSRC2:TGID_X_EN: 1
; COMPUTE_PGM_RSRC2:TGID_Y_EN: 0
; COMPUTE_PGM_RSRC2:TGID_Z_EN: 0
; COMPUTE_PGM_RSRC2:TIDIG_COMP_CNT: 0
	.text
	.p2alignl 7, 3214868480
	.fill 96, 4, 3214868480
	.type	__hip_cuid_3ab2cf5c7a1d55ab,@object ; @__hip_cuid_3ab2cf5c7a1d55ab
	.section	.bss,"aw",@nobits
	.globl	__hip_cuid_3ab2cf5c7a1d55ab
__hip_cuid_3ab2cf5c7a1d55ab:
	.byte	0                               ; 0x0
	.size	__hip_cuid_3ab2cf5c7a1d55ab, 1

	.ident	"AMD clang version 19.0.0git (https://github.com/RadeonOpenCompute/llvm-project roc-6.4.0 25133 c7fe45cf4b819c5991fe208aaa96edf142730f1d)"
	.section	".note.GNU-stack","",@progbits
	.addrsig
	.addrsig_sym __hip_cuid_3ab2cf5c7a1d55ab
	.amdgpu_metadata
---
amdhsa.kernels:
  - .args:
      - .actual_access:  read_only
        .address_space:  global
        .offset:         0
        .size:           8
        .value_kind:     global_buffer
      - .offset:         8
        .size:           8
        .value_kind:     by_value
      - .actual_access:  read_only
        .address_space:  global
        .offset:         16
        .size:           8
        .value_kind:     global_buffer
      - .actual_access:  read_only
        .address_space:  global
        .offset:         24
        .size:           8
        .value_kind:     global_buffer
      - .actual_access:  read_only
        .address_space:  global
        .offset:         32
        .size:           8
        .value_kind:     global_buffer
      - .offset:         40
        .size:           8
        .value_kind:     by_value
      - .actual_access:  read_only
        .address_space:  global
        .offset:         48
        .size:           8
        .value_kind:     global_buffer
      - .actual_access:  read_only
        .address_space:  global
        .offset:         56
        .size:           8
        .value_kind:     global_buffer
      - .offset:         64
        .size:           4
        .value_kind:     by_value
      - .actual_access:  read_only
        .address_space:  global
        .offset:         72
        .size:           8
        .value_kind:     global_buffer
      - .actual_access:  read_only
        .address_space:  global
        .offset:         80
        .size:           8
        .value_kind:     global_buffer
      - .actual_access:  read_only
        .address_space:  global
        .offset:         88
        .size:           8
        .value_kind:     global_buffer
      - .actual_access:  write_only
        .address_space:  global
        .offset:         96
        .size:           8
        .value_kind:     global_buffer
    .group_segment_fixed_size: 0
    .kernarg_segment_align: 8
    .kernarg_segment_size: 104
    .language:       OpenCL C
    .language_version:
      - 2
      - 0
    .max_flat_workgroup_size: 196
    .name:           fft_rtc_fwd_len1372_factors_2_2_7_7_7_wgs_196_tpt_98_halfLds_half_op_CI_CI_sbrr_dirReg
    .private_segment_fixed_size: 0
    .sgpr_count:     45
    .sgpr_spill_count: 0
    .symbol:         fft_rtc_fwd_len1372_factors_2_2_7_7_7_wgs_196_tpt_98_halfLds_half_op_CI_CI_sbrr_dirReg.kd
    .uniform_work_group_size: 1
    .uses_dynamic_stack: false
    .vgpr_count:     87
    .vgpr_spill_count: 0
    .wavefront_size: 32
    .workgroup_processor_mode: 1
amdhsa.target:   amdgcn-amd-amdhsa--gfx1201
amdhsa.version:
  - 1
  - 2
...

	.end_amdgpu_metadata
